;; amdgpu-corpus repo=ROCm/rocFFT kind=compiled arch=gfx950 opt=O3
	.text
	.amdgcn_target "amdgcn-amd-amdhsa--gfx950"
	.amdhsa_code_object_version 6
	.protected	fft_rtc_fwd_len792_factors_2_2_2_3_3_11_wgs_176_tpt_88_sp_op_CI_CI_unitstride_sbrr_dirReg ; -- Begin function fft_rtc_fwd_len792_factors_2_2_2_3_3_11_wgs_176_tpt_88_sp_op_CI_CI_unitstride_sbrr_dirReg
	.globl	fft_rtc_fwd_len792_factors_2_2_2_3_3_11_wgs_176_tpt_88_sp_op_CI_CI_unitstride_sbrr_dirReg
	.p2align	8
	.type	fft_rtc_fwd_len792_factors_2_2_2_3_3_11_wgs_176_tpt_88_sp_op_CI_CI_unitstride_sbrr_dirReg,@function
fft_rtc_fwd_len792_factors_2_2_2_3_3_11_wgs_176_tpt_88_sp_op_CI_CI_unitstride_sbrr_dirReg: ; @fft_rtc_fwd_len792_factors_2_2_2_3_3_11_wgs_176_tpt_88_sp_op_CI_CI_unitstride_sbrr_dirReg
; %bb.0:
	s_load_dwordx4 s[4:7], s[0:1], 0x58
	s_load_dwordx4 s[8:11], s[0:1], 0x0
	;; [unrolled: 1-line block ×3, first 2 shown]
	v_mul_u32_u24_e32 v1, 0x2e9, v0
	v_lshrrev_b32_e32 v14, 16, v1
	v_lshl_add_u32 v6, s2, 1, v14
	v_mov_b32_e32 v4, 0
	s_waitcnt lgkmcnt(0)
	v_cmp_lt_u64_e64 s[2:3], s[10:11], 2
	v_mov_b32_e32 v7, v4
	s_and_b64 vcc, exec, s[2:3]
	v_mov_b64_e32 v[2:3], 0
	s_cbranch_vccnz .LBB0_8
; %bb.1:
	s_load_dwordx2 s[2:3], s[0:1], 0x10
	s_add_u32 s16, s14, 8
	s_addc_u32 s17, s15, 0
	s_add_u32 s18, s12, 8
	s_addc_u32 s19, s13, 0
	s_waitcnt lgkmcnt(0)
	s_add_u32 s20, s2, 8
	v_mov_b64_e32 v[2:3], 0
	s_addc_u32 s21, s3, 0
	s_mov_b64 s[22:23], 1
	v_mov_b64_e32 v[20:21], v[2:3]
.LBB0_2:                                ; =>This Inner Loop Header: Depth=1
	s_load_dwordx2 s[24:25], s[20:21], 0x0
                                        ; implicit-def: $vgpr22_vgpr23
	s_waitcnt lgkmcnt(0)
	v_or_b32_e32 v5, s25, v7
	v_cmp_ne_u64_e32 vcc, 0, v[4:5]
	s_and_saveexec_b64 s[2:3], vcc
	s_xor_b64 s[26:27], exec, s[2:3]
	s_cbranch_execz .LBB0_4
; %bb.3:                                ;   in Loop: Header=BB0_2 Depth=1
	v_cvt_f32_u32_e32 v1, s24
	v_cvt_f32_u32_e32 v5, s25
	s_sub_u32 s2, 0, s24
	s_subb_u32 s3, 0, s25
	v_fmac_f32_e32 v1, 0x4f800000, v5
	v_rcp_f32_e32 v1, v1
	s_nop 0
	v_mul_f32_e32 v1, 0x5f7ffffc, v1
	v_mul_f32_e32 v5, 0x2f800000, v1
	v_trunc_f32_e32 v5, v5
	v_fmac_f32_e32 v1, 0xcf800000, v5
	v_cvt_u32_f32_e32 v5, v5
	v_cvt_u32_f32_e32 v1, v1
	v_mul_lo_u32 v8, s2, v5
	v_mul_hi_u32 v10, s2, v1
	v_mul_lo_u32 v9, s3, v1
	v_add_u32_e32 v10, v10, v8
	v_mul_lo_u32 v12, s2, v1
	v_add_u32_e32 v13, v10, v9
	v_mul_hi_u32 v8, v1, v12
	v_mul_hi_u32 v11, v1, v13
	v_mul_lo_u32 v10, v1, v13
	v_mov_b32_e32 v9, v4
	v_lshl_add_u64 v[8:9], v[8:9], 0, v[10:11]
	v_mul_hi_u32 v11, v5, v12
	v_mul_lo_u32 v12, v5, v12
	v_add_co_u32_e32 v8, vcc, v8, v12
	v_mul_hi_u32 v10, v5, v13
	s_nop 0
	v_addc_co_u32_e32 v8, vcc, v9, v11, vcc
	v_mov_b32_e32 v9, v4
	s_nop 0
	v_addc_co_u32_e32 v11, vcc, 0, v10, vcc
	v_mul_lo_u32 v10, v5, v13
	v_lshl_add_u64 v[8:9], v[8:9], 0, v[10:11]
	v_add_co_u32_e32 v1, vcc, v1, v8
	v_mul_lo_u32 v10, s2, v1
	s_nop 0
	v_addc_co_u32_e32 v5, vcc, v5, v9, vcc
	v_mul_lo_u32 v8, s2, v5
	v_mul_hi_u32 v9, s2, v1
	v_add_u32_e32 v8, v9, v8
	v_mul_lo_u32 v9, s3, v1
	v_add_u32_e32 v12, v8, v9
	v_mul_hi_u32 v15, v5, v10
	v_mul_lo_u32 v16, v5, v10
	v_mul_hi_u32 v9, v1, v12
	v_mul_lo_u32 v8, v1, v12
	v_mul_hi_u32 v10, v1, v10
	v_mov_b32_e32 v11, v4
	v_lshl_add_u64 v[8:9], v[10:11], 0, v[8:9]
	v_add_co_u32_e32 v8, vcc, v8, v16
	v_mul_hi_u32 v13, v5, v12
	s_nop 0
	v_addc_co_u32_e32 v8, vcc, v9, v15, vcc
	v_mul_lo_u32 v10, v5, v12
	s_nop 0
	v_addc_co_u32_e32 v11, vcc, 0, v13, vcc
	v_mov_b32_e32 v9, v4
	v_lshl_add_u64 v[8:9], v[8:9], 0, v[10:11]
	v_add_co_u32_e32 v1, vcc, v1, v8
	v_mul_hi_u32 v10, v6, v1
	s_nop 0
	v_addc_co_u32_e32 v5, vcc, v5, v9, vcc
	v_mad_u64_u32 v[8:9], s[2:3], v6, v5, 0
	v_mov_b32_e32 v11, v4
	v_lshl_add_u64 v[8:9], v[10:11], 0, v[8:9]
	v_mad_u64_u32 v[12:13], s[2:3], v7, v1, 0
	v_add_co_u32_e32 v1, vcc, v8, v12
	v_mad_u64_u32 v[10:11], s[2:3], v7, v5, 0
	s_nop 0
	v_addc_co_u32_e32 v8, vcc, v9, v13, vcc
	v_mov_b32_e32 v9, v4
	s_nop 0
	v_addc_co_u32_e32 v11, vcc, 0, v11, vcc
	v_lshl_add_u64 v[8:9], v[8:9], 0, v[10:11]
	v_mul_lo_u32 v1, s25, v8
	v_mul_lo_u32 v5, s24, v9
	v_mad_u64_u32 v[10:11], s[2:3], s24, v8, 0
	v_add3_u32 v1, v11, v5, v1
	v_sub_u32_e32 v5, v7, v1
	v_mov_b32_e32 v11, s25
	v_sub_co_u32_e32 v15, vcc, v6, v10
	v_lshl_add_u64 v[12:13], v[8:9], 0, 1
	s_nop 0
	v_subb_co_u32_e64 v5, s[2:3], v5, v11, vcc
	v_subrev_co_u32_e64 v10, s[2:3], s24, v15
	v_subb_co_u32_e32 v1, vcc, v7, v1, vcc
	s_nop 0
	v_subbrev_co_u32_e64 v5, s[2:3], 0, v5, s[2:3]
	v_cmp_le_u32_e64 s[2:3], s25, v5
	v_cmp_le_u32_e32 vcc, s25, v1
	s_nop 0
	v_cndmask_b32_e64 v11, 0, -1, s[2:3]
	v_cmp_le_u32_e64 s[2:3], s24, v10
	s_nop 1
	v_cndmask_b32_e64 v10, 0, -1, s[2:3]
	v_cmp_eq_u32_e64 s[2:3], s25, v5
	s_nop 1
	v_cndmask_b32_e64 v5, v11, v10, s[2:3]
	v_lshl_add_u64 v[10:11], v[8:9], 0, 2
	v_cmp_ne_u32_e64 s[2:3], 0, v5
	s_nop 1
	v_cndmask_b32_e64 v5, v13, v11, s[2:3]
	v_cndmask_b32_e64 v11, 0, -1, vcc
	v_cmp_le_u32_e32 vcc, s24, v15
	s_nop 1
	v_cndmask_b32_e64 v13, 0, -1, vcc
	v_cmp_eq_u32_e32 vcc, s25, v1
	s_nop 1
	v_cndmask_b32_e32 v1, v11, v13, vcc
	v_cmp_ne_u32_e32 vcc, 0, v1
	v_cndmask_b32_e64 v1, v12, v10, s[2:3]
	s_nop 0
	v_cndmask_b32_e32 v23, v9, v5, vcc
	v_cndmask_b32_e32 v22, v8, v1, vcc
.LBB0_4:                                ;   in Loop: Header=BB0_2 Depth=1
	s_andn2_saveexec_b64 s[2:3], s[26:27]
	s_cbranch_execz .LBB0_6
; %bb.5:                                ;   in Loop: Header=BB0_2 Depth=1
	v_cvt_f32_u32_e32 v1, s24
	s_sub_i32 s26, 0, s24
	v_mov_b32_e32 v23, v4
	v_rcp_iflag_f32_e32 v1, v1
	s_nop 0
	v_mul_f32_e32 v1, 0x4f7ffffe, v1
	v_cvt_u32_f32_e32 v1, v1
	v_mul_lo_u32 v5, s26, v1
	v_mul_hi_u32 v5, v1, v5
	v_add_u32_e32 v1, v1, v5
	v_mul_hi_u32 v1, v6, v1
	v_mul_lo_u32 v5, v1, s24
	v_sub_u32_e32 v5, v6, v5
	v_add_u32_e32 v8, 1, v1
	v_subrev_u32_e32 v9, s24, v5
	v_cmp_le_u32_e32 vcc, s24, v5
	s_nop 1
	v_cndmask_b32_e32 v5, v5, v9, vcc
	v_cndmask_b32_e32 v1, v1, v8, vcc
	v_add_u32_e32 v8, 1, v1
	v_cmp_le_u32_e32 vcc, s24, v5
	s_nop 1
	v_cndmask_b32_e32 v22, v1, v8, vcc
.LBB0_6:                                ;   in Loop: Header=BB0_2 Depth=1
	s_or_b64 exec, exec, s[2:3]
	v_mad_u64_u32 v[8:9], s[2:3], v22, s24, 0
	s_load_dwordx2 s[2:3], s[18:19], 0x0
	v_mul_lo_u32 v1, v23, s24
	v_mul_lo_u32 v5, v22, s25
	s_load_dwordx2 s[24:25], s[16:17], 0x0
	s_add_u32 s22, s22, 1
	v_add3_u32 v1, v9, v5, v1
	v_sub_co_u32_e32 v5, vcc, v6, v8
	s_addc_u32 s23, s23, 0
	s_nop 0
	v_subb_co_u32_e32 v1, vcc, v7, v1, vcc
	s_add_u32 s16, s16, 8
	s_waitcnt lgkmcnt(0)
	v_mul_lo_u32 v6, s2, v1
	v_mul_lo_u32 v7, s3, v5
	v_mad_u64_u32 v[2:3], s[2:3], s2, v5, v[2:3]
	s_addc_u32 s17, s17, 0
	v_add3_u32 v3, v7, v3, v6
	v_mul_lo_u32 v1, s24, v1
	v_mul_lo_u32 v6, s25, v5
	v_mad_u64_u32 v[20:21], s[2:3], s24, v5, v[20:21]
	s_add_u32 s18, s18, 8
	v_add3_u32 v21, v6, v21, v1
	s_addc_u32 s19, s19, 0
	v_mov_b64_e32 v[6:7], s[10:11]
	s_add_u32 s20, s20, 8
	v_cmp_ge_u64_e32 vcc, s[22:23], v[6:7]
	s_addc_u32 s21, s21, 0
	s_cbranch_vccnz .LBB0_9
; %bb.7:                                ;   in Loop: Header=BB0_2 Depth=1
	v_mov_b64_e32 v[6:7], v[22:23]
	s_branch .LBB0_2
.LBB0_8:
	v_mov_b64_e32 v[20:21], v[2:3]
	v_mov_b64_e32 v[22:23], v[6:7]
.LBB0_9:
	s_load_dwordx2 s[2:3], s[0:1], 0x28
	s_lshl_b64 s[16:17], s[10:11], 3
	s_add_u32 s10, s14, s16
	s_addc_u32 s11, s15, s17
                                        ; implicit-def: $sgpr14
                                        ; implicit-def: $vgpr24
	s_waitcnt lgkmcnt(0)
	v_cmp_gt_u64_e64 s[0:1], s[2:3], v[22:23]
	v_cmp_le_u64_e32 vcc, s[2:3], v[22:23]
	s_and_saveexec_b64 s[2:3], vcc
	s_xor_b64 s[2:3], exec, s[2:3]
; %bb.10:
	s_mov_b32 s14, 0x2e8ba2f
	v_mul_hi_u32 v1, v0, s14
	v_mul_u32_u24_e32 v1, 0x58, v1
	v_sub_u32_e32 v24, v0, v1
	s_mov_b32 s14, 0
                                        ; implicit-def: $vgpr0
                                        ; implicit-def: $vgpr2_vgpr3
; %bb.11:
	s_or_saveexec_b64 s[2:3], s[2:3]
	s_load_dwordx2 s[10:11], s[10:11], 0x0
	v_mov_b32_e32 v6, s14
	v_mov_b32_e32 v7, s14
                                        ; implicit-def: $vgpr12
                                        ; implicit-def: $vgpr28
                                        ; implicit-def: $vgpr30
                                        ; implicit-def: $vgpr18
                                        ; implicit-def: $vgpr26
                                        ; implicit-def: $vgpr8
                                        ; implicit-def: $vgpr16
                                        ; implicit-def: $vgpr4
                                        ; implicit-def: $vgpr10
	s_xor_b64 exec, exec, s[2:3]
	s_cbranch_execz .LBB0_15
; %bb.12:
	s_add_u32 s12, s12, s16
	s_addc_u32 s13, s13, s17
	s_load_dwordx2 s[12:13], s[12:13], 0x0
	s_mov_b32 s14, 0x2e8ba2f
	v_mov_b32_e32 v7, 0
                                        ; implicit-def: $vgpr13
	s_waitcnt lgkmcnt(0)
	v_mul_lo_u32 v1, s13, v22
	v_mul_lo_u32 v6, s12, v23
	v_mad_u64_u32 v[4:5], s[12:13], s12, v22, 0
	v_add3_u32 v5, v5, v6, v1
	v_mul_hi_u32 v1, v0, s14
	v_mul_u32_u24_e32 v1, 0x58, v1
	v_sub_u32_e32 v24, v0, v1
	v_lshl_add_u64 v[0:1], v[4:5], 3, s[4:5]
	v_lshl_add_u64 v[0:1], v[2:3], 3, v[0:1]
	v_lshlrev_b32_e32 v6, 3, v24
	v_lshl_add_u64 v[0:1], v[0:1], 0, v[6:7]
	v_add_co_u32_e32 v2, vcc, 0x1000, v0
	v_mov_b32_e32 v6, v7
	s_nop 0
	v_addc_co_u32_e32 v3, vcc, 0, v1, vcc
	global_load_dwordx2 v[28:29], v[0:1], off
	global_load_dwordx2 v[18:19], v[0:1], off offset:704
	global_load_dwordx2 v[8:9], v[0:1], off offset:1408
	;; [unrolled: 1-line block ×7, first 2 shown]
	v_cmp_gt_u32_e32 vcc, 44, v24
	s_and_saveexec_b64 s[4:5], vcc
	s_cbranch_execz .LBB0_14
; %bb.13:
	v_add_co_u32_e32 v2, vcc, 0x1000, v0
	s_nop 1
	v_addc_co_u32_e32 v3, vcc, 0, v1, vcc
	global_load_dwordx2 v[6:7], v[0:1], off offset:2816
	global_load_dwordx2 v[12:13], v[2:3], off offset:1888
.LBB0_14:
	s_or_b64 exec, exec, s[4:5]
.LBB0_15:
	s_or_b64 exec, exec, s[2:3]
	v_and_b32_e32 v0, 1, v14
	v_mov_b32_e32 v1, 0x318
	v_cmp_eq_u32_e32 vcc, 1, v0
	s_waitcnt vmcnt(0)
	v_pk_add_f32 v[14:15], v[6:7], v[12:13] neg_lo:[0,1] neg_hi:[0,1]
	v_lshl_add_u32 v0, v24, 4, 0
	v_cndmask_b32_e32 v1, 0, v1, vcc
	v_lshlrev_b32_e32 v33, 3, v1
	v_pk_add_f32 v[2:3], v[28:29], v[30:31] neg_lo:[0,1] neg_hi:[0,1]
	v_pk_fma_f32 v[12:13], v[6:7], 2.0, v[14:15] op_sel_hi:[1,0,1] neg_lo:[0,0,1] neg_hi:[0,0,1]
	v_add_u32_e32 v1, v0, v33
	v_pk_fma_f32 v[6:7], v[28:29], 2.0, v[2:3] op_sel_hi:[1,0,1] neg_lo:[0,0,1] neg_hi:[0,0,1]
	v_add_u32_e32 v28, 0x58, v24
	ds_write2_b64 v1, v[6:7], v[2:3] offset1:1
	v_lshlrev_b32_e32 v1, 4, v28
	v_pk_add_f32 v[2:3], v[18:19], v[26:27] neg_lo:[0,1] neg_hi:[0,1]
	v_add3_u32 v1, 0, v1, v33
	v_pk_fma_f32 v[6:7], v[18:19], 2.0, v[2:3] op_sel_hi:[1,0,1] neg_lo:[0,0,1] neg_hi:[0,0,1]
	v_add_u32_e32 v26, 0xb0, v24
	ds_write2_b64 v1, v[6:7], v[2:3] offset1:1
	v_lshlrev_b32_e32 v1, 4, v26
	v_pk_add_f32 v[2:3], v[8:9], v[16:17] neg_lo:[0,1] neg_hi:[0,1]
	v_add3_u32 v1, 0, v1, v33
	;; [unrolled: 6-line block ×3, first 2 shown]
	v_pk_fma_f32 v[4:5], v[4:5], 2.0, v[2:3] op_sel_hi:[1,0,1] neg_lo:[0,0,1] neg_hi:[0,0,1]
	v_add_u32_e32 v34, 0x160, v24
	v_cmp_gt_u32_e32 vcc, 44, v24
	ds_write2_b64 v1, v[4:5], v[2:3] offset1:1
	s_and_saveexec_b64 s[2:3], vcc
	s_cbranch_execz .LBB0_17
; %bb.16:
	v_lshlrev_b32_e32 v1, 4, v34
	v_add3_u32 v1, 0, v1, v33
	ds_write2_b64 v1, v[12:13], v[14:15] offset1:1
.LBB0_17:
	s_or_b64 exec, exec, s[2:3]
	v_lshlrev_b32_e32 v1, 3, v24
	v_sub_u32_e32 v0, v0, v1
	v_add_u32_e32 v25, v0, v33
	v_add_u32_e32 v0, 0x800, v25
	;; [unrolled: 1-line block ×3, first 2 shown]
	s_waitcnt lgkmcnt(0)
	s_barrier
	v_add3_u32 v32, 0, v33, v1
	ds_read2_b64 v[0:3], v0 offset0:8 offset1:140
	ds_read2_b64 v[4:7], v25 offset0:88 offset1:176
	;; [unrolled: 1-line block ×3, first 2 shown]
	ds_read_b64 v[18:19], v32
	ds_read_b64 v[16:17], v25 offset:5280
	v_lshlrev_b32_e32 v29, 1, v24
	v_lshlrev_b32_e32 v30, 1, v28
	;; [unrolled: 1-line block ×4, first 2 shown]
	s_and_saveexec_b64 s[2:3], vcc
	s_cbranch_execz .LBB0_19
; %bb.18:
	ds_read_b64 v[12:13], v25 offset:2816
	ds_read_b64 v[14:15], v25 offset:5984
.LBB0_19:
	s_or_b64 exec, exec, s[2:3]
	v_and_b32_e32 v35, 1, v24
	v_lshlrev_b32_e32 v36, 3, v35
	global_load_dwordx2 v[36:37], v36, s[8:9]
	s_movk_i32 s2, 0xfc
	s_movk_i32 s3, 0x1fc
	;; [unrolled: 1-line block ×3, first 2 shown]
	v_and_or_b32 v39, v29, s2, v35
	v_and_or_b32 v40, v30, s3, v35
	;; [unrolled: 1-line block ×3, first 2 shown]
	s_waitcnt lgkmcnt(0)
	v_mov_b32_e32 v38, v15
	v_and_or_b32 v42, v27, s4, v35
	v_lshlrev_b32_e32 v39, 3, v39
	v_lshlrev_b32_e32 v40, 3, v40
	v_lshlrev_b32_e32 v41, 3, v41
	v_lshlrev_b32_e32 v42, 3, v42
	v_add3_u32 v50, 0, v39, v33
	v_add3_u32 v51, 0, v40, v33
	;; [unrolled: 1-line block ×4, first 2 shown]
	v_lshlrev_b32_e32 v34, 1, v34
	s_barrier
	s_waitcnt vmcnt(0)
	v_pk_mul_f32 v[38:39], v[38:39], v[36:37] op_sel_hi:[0,1]
	v_pk_mul_f32 v[40:41], v[36:37], v[2:3] op_sel:[0,1]
	v_pk_mul_f32 v[42:43], v[36:37], v[8:9] op_sel:[0,1]
	;; [unrolled: 1-line block ×4, first 2 shown]
	v_pk_fma_f32 v[48:49], v[14:15], v[36:37], v[38:39] op_sel:[0,0,1] op_sel_hi:[1,1,0] neg_lo:[0,0,1] neg_hi:[0,0,1]
	v_pk_fma_f32 v[14:15], v[14:15], v[36:37], v[38:39] op_sel:[0,0,1] op_sel_hi:[0,1,0]
	v_pk_fma_f32 v[38:39], v[36:37], v[2:3], v[40:41] op_sel:[0,0,1] op_sel_hi:[1,1,0] neg_lo:[0,0,1] neg_hi:[0,0,1]
	v_pk_fma_f32 v[2:3], v[36:37], v[2:3], v[40:41] op_sel:[0,0,1] op_sel_hi:[1,0,0]
	v_pk_fma_f32 v[40:41], v[36:37], v[8:9], v[42:43] op_sel:[0,0,1] op_sel_hi:[1,1,0] neg_lo:[0,0,1] neg_hi:[0,0,1]
	v_pk_fma_f32 v[8:9], v[36:37], v[8:9], v[42:43] op_sel:[0,0,1] op_sel_hi:[1,0,0]
	v_pk_fma_f32 v[42:43], v[36:37], v[10:11], v[44:45] op_sel:[0,0,1] op_sel_hi:[1,1,0] neg_lo:[0,0,1] neg_hi:[0,0,1]
	v_pk_fma_f32 v[10:11], v[36:37], v[10:11], v[44:45] op_sel:[0,0,1] op_sel_hi:[1,0,0]
	v_pk_fma_f32 v[44:45], v[36:37], v[16:17], v[46:47] op_sel:[0,0,1] op_sel_hi:[1,1,0] neg_lo:[0,0,1] neg_hi:[0,0,1]
	v_pk_fma_f32 v[16:17], v[36:37], v[16:17], v[46:47] op_sel:[0,0,1] op_sel_hi:[1,0,0]
	v_mov_b32_e32 v49, v15
	v_mov_b32_e32 v39, v3
	;; [unrolled: 1-line block ×5, first 2 shown]
	v_pk_add_f32 v[16:17], v[12:13], v[48:49] neg_lo:[0,1] neg_hi:[0,1]
	v_pk_add_f32 v[2:3], v[18:19], v[38:39] neg_lo:[0,1] neg_hi:[0,1]
	;; [unrolled: 1-line block ×5, first 2 shown]
	v_pk_fma_f32 v[14:15], v[12:13], 2.0, v[16:17] op_sel_hi:[1,0,1] neg_lo:[0,0,1] neg_hi:[0,0,1]
	v_pk_fma_f32 v[12:13], v[18:19], 2.0, v[2:3] op_sel_hi:[1,0,1] neg_lo:[0,0,1] neg_hi:[0,0,1]
	v_pk_fma_f32 v[4:5], v[4:5], 2.0, v[8:9] op_sel_hi:[1,0,1] neg_lo:[0,0,1] neg_hi:[0,0,1]
	v_pk_fma_f32 v[6:7], v[6:7], 2.0, v[10:11] op_sel_hi:[1,0,1] neg_lo:[0,0,1] neg_hi:[0,0,1]
	v_pk_fma_f32 v[0:1], v[0:1], 2.0, v[36:37] op_sel_hi:[1,0,1] neg_lo:[0,0,1] neg_hi:[0,0,1]
	ds_write2_b64 v50, v[12:13], v[2:3] offset1:2
	ds_write2_b64 v51, v[4:5], v[8:9] offset1:2
	;; [unrolled: 1-line block ×4, first 2 shown]
	s_and_saveexec_b64 s[2:3], vcc
	s_cbranch_execz .LBB0_21
; %bb.20:
	v_and_or_b32 v0, v34, s4, v35
	v_lshlrev_b32_e32 v0, 3, v0
	v_add3_u32 v0, 0, v0, v33
	ds_write2_b64 v0, v[14:15], v[16:17] offset1:2
.LBB0_21:
	s_or_b64 exec, exec, s[2:3]
	v_add_u32_e32 v0, 0x800, v25
	s_waitcnt lgkmcnt(0)
	s_barrier
	ds_read2_b64 v[2:5], v0 offset0:8 offset1:140
	ds_read2_b64 v[6:9], v25 offset0:88 offset1:176
	v_add_u32_e32 v0, 0xc00, v25
	ds_read2_b64 v[10:13], v0 offset0:100 offset1:188
	ds_read_b64 v[18:19], v32
	ds_read_b64 v[0:1], v25 offset:5280
	s_and_saveexec_b64 s[2:3], vcc
	s_cbranch_execz .LBB0_23
; %bb.22:
	ds_read_b64 v[14:15], v25 offset:2816
	ds_read_b64 v[16:17], v25 offset:5984
.LBB0_23:
	s_or_b64 exec, exec, s[2:3]
	v_and_b32_e32 v35, 3, v24
	v_lshlrev_b32_e32 v36, 3, v35
	global_load_dwordx2 v[36:37], v36, s[8:9] offset:16
	s_movk_i32 s2, 0xf8
	s_movk_i32 s3, 0x1f8
	;; [unrolled: 1-line block ×3, first 2 shown]
	s_waitcnt lgkmcnt(0)
	v_mov_b32_e32 v38, v17
	v_and_or_b32 v17, v29, s2, v35
	v_and_or_b32 v29, v30, s3, v35
	;; [unrolled: 1-line block ×3, first 2 shown]
	v_lshlrev_b32_e32 v30, 3, v30
	v_lshlrev_b32_e32 v17, 3, v17
	v_add3_u32 v49, 0, v30, v33
	v_add3_u32 v48, 0, v17, v33
	v_and_or_b32 v27, v27, s4, v35
	v_lshlrev_b32_e32 v29, 3, v29
	v_lshlrev_b32_e32 v27, 3, v27
	s_barrier
	v_add3_u32 v29, 0, v29, v33
	v_add3_u32 v27, 0, v27, v33
	s_waitcnt vmcnt(0)
	v_pk_mul_f32 v[30:31], v[38:39], v[36:37] op_sel_hi:[0,1]
	v_pk_mul_f32 v[38:39], v[36:37], v[4:5] op_sel:[0,1]
	v_pk_mul_f32 v[40:41], v[36:37], v[10:11] op_sel:[0,1]
	;; [unrolled: 1-line block ×4, first 2 shown]
	v_pk_fma_f32 v[46:47], v[16:17], v[36:37], v[30:31] op_sel:[0,0,1] op_sel_hi:[1,1,0] neg_lo:[0,0,1] neg_hi:[0,0,1]
	v_pk_fma_f32 v[16:17], v[16:17], v[36:37], v[30:31] op_sel:[0,0,1] op_sel_hi:[0,1,0]
	v_pk_fma_f32 v[30:31], v[36:37], v[4:5], v[38:39] op_sel:[0,0,1] op_sel_hi:[1,1,0] neg_lo:[0,0,1] neg_hi:[0,0,1]
	v_pk_fma_f32 v[4:5], v[36:37], v[4:5], v[38:39] op_sel:[0,0,1] op_sel_hi:[1,0,0]
	;; [unrolled: 2-line block ×5, first 2 shown]
	v_mov_b32_e32 v31, v5
	v_mov_b32_e32 v47, v17
	;; [unrolled: 1-line block ×5, first 2 shown]
	v_pk_add_f32 v[4:5], v[18:19], v[30:31] neg_lo:[0,1] neg_hi:[0,1]
	v_pk_add_f32 v[0:1], v[14:15], v[46:47] neg_lo:[0,1] neg_hi:[0,1]
	;; [unrolled: 1-line block ×5, first 2 shown]
	v_pk_fma_f32 v[18:19], v[18:19], 2.0, v[4:5] op_sel_hi:[1,0,1] neg_lo:[0,0,1] neg_hi:[0,0,1]
	v_pk_fma_f32 v[6:7], v[6:7], 2.0, v[10:11] op_sel_hi:[1,0,1] neg_lo:[0,0,1] neg_hi:[0,0,1]
	;; [unrolled: 1-line block ×4, first 2 shown]
	ds_write2_b64 v48, v[18:19], v[4:5] offset1:4
	ds_write2_b64 v29, v[6:7], v[10:11] offset1:4
	;; [unrolled: 1-line block ×4, first 2 shown]
	s_and_saveexec_b64 s[2:3], vcc
	s_cbranch_execz .LBB0_25
; %bb.24:
	v_and_or_b32 v2, v34, s4, v35
	v_lshlrev_b32_e32 v2, 3, v2
	v_add3_u32 v4, 0, v2, v33
	v_pk_fma_f32 v[2:3], v[14:15], 2.0, v[0:1] op_sel_hi:[1,0,1] neg_lo:[0,0,1] neg_hi:[0,0,1]
	ds_write2_b64 v4, v[2:3], v[0:1] offset1:4
.LBB0_25:
	s_or_b64 exec, exec, s[2:3]
	v_and_b32_e32 v11, 7, v24
	v_lshlrev_b32_e32 v2, 4, v11
	s_waitcnt lgkmcnt(0)
	s_barrier
	global_load_dwordx4 v[4:7], v2, s[8:9] offset:48
	v_add_u32_e32 v3, 0x800, v25
	v_add_u32_e32 v10, 0xc00, v25
	;; [unrolled: 1-line block ×3, first 2 shown]
	ds_read2_b64 v[12:15], v25 offset0:88 offset1:176
	ds_read_b64 v[8:9], v32
	ds_read2_b64 v[16:19], v3 offset0:8 offset1:96
	ds_read2_b64 v[34:37], v10 offset0:56 offset1:144
	;; [unrolled: 1-line block ×3, first 2 shown]
	v_lshrrev_b32_e32 v27, 3, v24
	v_lshrrev_b32_e32 v29, 3, v28
	;; [unrolled: 1-line block ×3, first 2 shown]
	v_mul_u32_u24_e32 v27, 24, v27
	v_mul_u32_u24_e32 v29, 24, v29
	;; [unrolled: 1-line block ×3, first 2 shown]
	v_or_b32_e32 v27, v27, v11
	v_or_b32_e32 v29, v29, v11
	;; [unrolled: 1-line block ×3, first 2 shown]
	s_mov_b32 s2, 0x3f5db3d7
	v_lshlrev_b32_e32 v27, 3, v27
	v_lshlrev_b32_e32 v29, 3, v29
	v_add3_u32 v27, 0, v27, v33
	s_waitcnt lgkmcnt(0)
	s_barrier
	v_lshlrev_b32_e32 v11, 3, v11
	v_add3_u32 v29, 0, v29, v33
	v_add3_u32 v11, 0, v11, v33
	s_movk_i32 s4, 0x48
	v_cmp_gt_u32_e32 vcc, s4, v24
	s_waitcnt vmcnt(0)
	v_pk_mul_f32 v[30:31], v[4:5], v[34:35] op_sel:[0,1]
	v_pk_mul_f32 v[42:43], v[6:7], v[40:41] op_sel:[0,1]
	;; [unrolled: 1-line block ×6, first 2 shown]
	v_pk_fma_f32 v[52:53], v[4:5], v[34:35], v[30:31] op_sel:[0,0,1] op_sel_hi:[1,1,0] neg_lo:[0,0,1] neg_hi:[0,0,1]
	v_pk_fma_f32 v[30:31], v[4:5], v[34:35], v[30:31] op_sel:[0,0,1] op_sel_hi:[1,0,0]
	v_pk_fma_f32 v[34:35], v[6:7], v[40:41], v[42:43] op_sel:[0,0,1] op_sel_hi:[1,1,0] neg_lo:[0,0,1] neg_hi:[0,0,1]
	v_pk_fma_f32 v[40:41], v[6:7], v[40:41], v[42:43] op_sel:[0,0,1] op_sel_hi:[1,0,0]
	;; [unrolled: 2-line block ×6, first 2 shown]
	v_mov_b32_e32 v43, v19
	v_mov_b32_e32 v45, v39
	;; [unrolled: 1-line block ×6, first 2 shown]
	v_pk_add_f32 v[18:19], v[42:43], v[44:45]
	v_pk_add_f32 v[30:31], v[42:43], v[44:45] neg_lo:[0,1] neg_hi:[0,1]
	v_pk_add_f32 v[38:39], v[46:47], v[16:17]
	v_pk_add_f32 v[40:41], v[46:47], v[16:17] neg_lo:[0,1] neg_hi:[0,1]
	v_pk_add_f32 v[6:7], v[12:13], v[42:43]
	v_pk_add_f32 v[36:37], v[8:9], v[46:47]
	v_pk_fma_f32 v[12:13], v[18:19], 0.5, v[12:13] op_sel_hi:[1,0,1] neg_lo:[1,0,0] neg_hi:[1,0,0]
	v_pk_mul_f32 v[18:19], v[30:31], s[2:3] op_sel_hi:[1,0]
	v_pk_fma_f32 v[8:9], v[38:39], 0.5, v[8:9] op_sel_hi:[1,0,1] neg_lo:[1,0,0] neg_hi:[1,0,0]
	v_pk_mul_f32 v[30:31], v[40:41], s[2:3] op_sel_hi:[1,0]
	v_pk_add_f32 v[4:5], v[14:15], v[52:53]
	v_pk_add_f32 v[42:43], v[52:53], v[34:35]
	v_pk_add_f32 v[46:47], v[52:53], v[34:35] neg_lo:[0,1] neg_hi:[0,1]
	v_pk_add_f32 v[16:17], v[36:37], v[16:17]
	v_pk_add_f32 v[36:37], v[12:13], v[18:19] op_sel:[0,1] op_sel_hi:[1,0]
	v_pk_add_f32 v[12:13], v[12:13], v[18:19] op_sel:[0,1] op_sel_hi:[1,0] neg_lo:[0,1] neg_hi:[0,1]
	v_pk_add_f32 v[18:19], v[8:9], v[30:31] op_sel:[0,1] op_sel_hi:[1,0]
	v_pk_add_f32 v[8:9], v[8:9], v[30:31] op_sel:[0,1] op_sel_hi:[1,0] neg_lo:[0,1] neg_hi:[0,1]
	v_pk_add_f32 v[4:5], v[4:5], v[34:35]
	v_pk_add_f32 v[6:7], v[6:7], v[44:45]
	v_pk_fma_f32 v[14:15], v[42:43], 0.5, v[14:15] op_sel_hi:[1,0,1] neg_lo:[1,0,0] neg_hi:[1,0,0]
	v_pk_mul_f32 v[34:35], v[46:47], s[2:3] op_sel_hi:[1,0]
	v_mov_b32_e32 v38, v18
	v_mov_b32_e32 v39, v9
	v_pk_add_f32 v[30:31], v[14:15], v[34:35] op_sel:[0,1] op_sel_hi:[1,0]
	v_mov_b32_e32 v9, v19
	v_mov_b32_e32 v18, v36
	;; [unrolled: 1-line block ×4, first 2 shown]
	ds_write2_b64 v27, v[16:17], v[38:39] offset1:8
	ds_write_b64 v27, v[8:9] offset:128
	ds_write2_b64 v29, v[6:7], v[18:19] offset1:8
	ds_write_b64 v29, v[12:13] offset:128
	v_pk_add_f32 v[6:7], v[14:15], v[34:35] op_sel:[0,1] op_sel_hi:[1,0] neg_lo:[0,1] neg_hi:[0,1]
	v_mov_b32_e32 v8, v30
	v_mov_b32_e32 v9, v7
	s_movk_i32 s3, 0xab
	ds_write2_b64 v11, v[4:5], v[8:9] offset1:8
	v_mul_lo_u16_sdwa v4, v24, s3 dst_sel:DWORD dst_unused:UNUSED_PAD src0_sel:BYTE_0 src1_sel:DWORD
	v_lshrrev_b16_e32 v8, 12, v4
	v_mul_lo_u16_e32 v4, 24, v8
	v_sub_u16_e32 v9, v24, v4
	v_mul_lo_u16_sdwa v4, v28, s3 dst_sel:DWORD dst_unused:UNUSED_PAD src0_sel:BYTE_0 src1_sel:DWORD
	s_mov_b32 s3, 0xaaab
	v_lshrrev_b16_e32 v27, 12, v4
	v_mul_u32_u24_sdwa v4, v26, s3 dst_sel:DWORD dst_unused:UNUSED_PAD src0_sel:WORD_0 src1_sel:DWORD
	v_lshrrev_b32_e32 v29, 20, v4
	v_mov_b32_e32 v7, v31
	v_mul_lo_u16_e32 v4, 24, v29
	ds_write_b64 v11, v[6:7] offset:128
	v_mov_b32_e32 v11, 4
	v_sub_u16_e32 v26, v26, v4
	v_mul_lo_u16_e32 v16, 24, v27
	v_lshlrev_b32_sdwa v12, v11, v9 dst_sel:DWORD dst_unused:UNUSED_PAD src0_sel:DWORD src1_sel:BYTE_0
	v_lshlrev_b32_e32 v4, 4, v26
	v_sub_u16_e32 v28, v28, v16
	s_waitcnt lgkmcnt(0)
	s_barrier
	global_load_dwordx4 v[4:7], v4, s[8:9] offset:176
	v_lshlrev_b32_sdwa v11, v11, v28 dst_sel:DWORD dst_unused:UNUSED_PAD src0_sel:DWORD src1_sel:BYTE_0
	global_load_dwordx4 v[16:19], v11, s[8:9] offset:176
	s_movk_i32 s3, 0x240
	global_load_dwordx4 v[12:15], v12, s[8:9] offset:176
	v_mov_b32_e32 v11, 3
	v_mad_u32_u24 v8, v8, s3, 0
	v_mad_u32_u24 v27, v27, s3, 0
	;; [unrolled: 1-line block ×3, first 2 shown]
	v_lshlrev_b32_sdwa v9, v11, v9 dst_sel:DWORD dst_unused:UNUSED_PAD src0_sel:DWORD src1_sel:BYTE_0
	v_lshlrev_b32_sdwa v11, v11, v28 dst_sel:DWORD dst_unused:UNUSED_PAD src0_sel:DWORD src1_sel:BYTE_0
	v_lshlrev_b32_e32 v26, 3, v26
	v_add3_u32 v58, v8, v9, v33
	v_add3_u32 v59, v27, v11, v33
	;; [unrolled: 1-line block ×3, first 2 shown]
	ds_read2_b64 v[26:29], v3 offset0:8 offset1:96
	ds_read2_b64 v[34:37], v10 offset0:56 offset1:144
	;; [unrolled: 1-line block ×3, first 2 shown]
	ds_read_b64 v[30:31], v32
	ds_read2_b64 v[42:45], v25 offset0:88 offset1:176
	s_waitcnt lgkmcnt(0)
	s_barrier
	s_waitcnt vmcnt(2)
	v_pk_mul_f32 v[46:47], v[40:41], v[6:7] op_sel:[1,0] op_sel_hi:[0,1]
	v_mov_b32_e32 v8, v7
	v_pk_mul_f32 v[52:53], v[4:5], v[34:35] op_sel:[0,1]
	s_waitcnt vmcnt(1)
	v_pk_mul_f32 v[54:55], v[16:17], v[28:29] op_sel:[0,1]
	s_waitcnt vmcnt(0)
	v_pk_mul_f32 v[48:49], v[12:13], v[26:27] op_sel:[0,1]
	v_pk_mul_f32 v[50:51], v[14:15], v[36:37] op_sel:[0,1]
	v_mov_b32_e32 v11, v46
	v_pk_fma_f32 v[46:47], v[12:13], v[26:27], v[48:49] op_sel:[0,0,1] op_sel_hi:[1,1,0] neg_lo:[0,0,1] neg_hi:[0,0,1]
	v_pk_fma_f32 v[12:13], v[12:13], v[26:27], v[48:49] op_sel:[0,0,1] op_sel_hi:[1,0,0]
	v_pk_fma_f32 v[26:27], v[14:15], v[36:37], v[50:51] op_sel:[0,0,1] op_sel_hi:[1,1,0] neg_lo:[0,0,1] neg_hi:[0,0,1]
	v_pk_fma_f32 v[14:15], v[14:15], v[36:37], v[50:51] op_sel:[0,0,1] op_sel_hi:[1,0,0]
	v_pk_mul_f32 v[56:57], v[18:19], v[38:39] op_sel:[0,1]
	v_pk_mul_f32 v[8:9], v[40:41], v[8:9] op_sel:[1,0] op_sel_hi:[0,1]
	v_pk_fma_f32 v[36:37], v[4:5], v[34:35], v[52:53] op_sel:[0,0,1] op_sel_hi:[1,1,0] neg_lo:[0,0,1] neg_hi:[0,0,1]
	v_pk_fma_f32 v[4:5], v[4:5], v[34:35], v[52:53] op_sel:[0,0,1] op_sel_hi:[1,0,0]
	v_pk_fma_f32 v[34:35], v[16:17], v[28:29], v[54:55] op_sel:[0,0,1] op_sel_hi:[1,1,0] neg_lo:[0,0,1] neg_hi:[0,0,1]
	v_pk_fma_f32 v[16:17], v[16:17], v[28:29], v[54:55] op_sel:[0,0,1] op_sel_hi:[1,0,0]
	v_mov_b32_e32 v47, v13
	v_mov_b32_e32 v27, v15
	v_pk_fma_f32 v[28:29], v[18:19], v[38:39], v[56:57] op_sel:[0,0,1] op_sel_hi:[1,1,0] neg_lo:[0,0,1] neg_hi:[0,0,1]
	v_pk_fma_f32 v[18:19], v[18:19], v[38:39], v[56:57] op_sel:[0,0,1] op_sel_hi:[1,0,0]
	v_pk_fma_f32 v[38:39], v[40:41], v[6:7], v[8:9] neg_lo:[0,0,1] neg_hi:[0,0,1]
	v_mov_b32_e32 v37, v5
	v_mov_b32_e32 v35, v17
	v_pk_add_f32 v[4:5], v[46:47], v[26:27]
	v_pk_add_f32 v[8:9], v[46:47], v[26:27] neg_lo:[0,1] neg_hi:[0,1]
	v_mov_b32_e32 v29, v19
	v_pk_add_f32 v[14:15], v[42:43], v[34:35]
	v_pk_fma_f32 v[4:5], v[4:5], 0.5, v[30:31] op_sel_hi:[1,0,1] neg_lo:[1,0,0] neg_hi:[1,0,0]
	v_pk_mul_f32 v[16:17], v[8:9], s[2:3] op_sel_hi:[1,0]
	v_pk_add_f32 v[8:9], v[14:15], v[28:29]
	v_pk_add_f32 v[14:15], v[4:5], v[16:17] op_sel:[0,1] op_sel_hi:[1,0]
	v_pk_add_f32 v[16:17], v[4:5], v[16:17] op_sel:[0,1] op_sel_hi:[1,0] neg_lo:[0,1] neg_hi:[0,1]
	v_pk_add_f32 v[4:5], v[30:31], v[46:47]
	v_pk_fma_f32 v[6:7], v[40:41], v[6:7], v[10:11] op_sel:[1,0,0] op_sel_hi:[0,1,1]
	v_pk_add_f32 v[26:27], v[4:5], v[26:27]
	v_mov_b32_e32 v4, v14
	v_mov_b32_e32 v5, v17
	ds_write2_b64 v58, v[26:27], v[4:5] offset1:24
	v_mov_b32_e32 v4, v16
	v_mov_b32_e32 v5, v15
	v_pk_add_f32 v[12:13], v[44:45], v[36:37]
	v_mov_b32_e32 v39, v7
	ds_write_b64 v58, v[4:5] offset:384
	v_pk_add_f32 v[4:5], v[34:35], v[28:29]
	v_pk_add_f32 v[6:7], v[12:13], v[38:39]
	v_pk_fma_f32 v[12:13], v[4:5], 0.5, v[42:43] op_sel_hi:[1,0,1] neg_lo:[1,0,0] neg_hi:[1,0,0]
	v_pk_add_f32 v[4:5], v[34:35], v[28:29] neg_lo:[0,1] neg_hi:[0,1]
	s_nop 0
	v_pk_mul_f32 v[18:19], v[4:5], s[2:3] op_sel_hi:[1,0]
	s_nop 0
	v_pk_add_f32 v[4:5], v[12:13], v[18:19] op_sel:[0,1] op_sel_hi:[1,0]
	v_pk_add_f32 v[28:29], v[12:13], v[18:19] op_sel:[0,1] op_sel_hi:[1,0] neg_lo:[0,1] neg_hi:[0,1]
	v_mov_b32_e32 v12, v4
	v_mov_b32_e32 v13, v29
	ds_write2_b64 v59, v[8:9], v[12:13] offset1:24
	v_mov_b32_e32 v12, v28
	v_mov_b32_e32 v13, v5
	ds_write_b64 v59, v[12:13] offset:384
	v_pk_add_f32 v[12:13], v[36:37], v[38:39]
	v_pk_add_f32 v[18:19], v[36:37], v[38:39] neg_lo:[0,1] neg_hi:[0,1]
	v_pk_fma_f32 v[12:13], v[12:13], 0.5, v[44:45] op_sel_hi:[1,0,1] neg_lo:[1,0,0] neg_hi:[1,0,0]
	v_pk_mul_f32 v[30:31], v[18:19], s[2:3] op_sel_hi:[1,0]
	s_nop 0
	v_pk_add_f32 v[18:19], v[12:13], v[30:31] op_sel:[0,1] op_sel_hi:[1,0]
	v_pk_add_f32 v[30:31], v[12:13], v[30:31] op_sel:[0,1] op_sel_hi:[1,0] neg_lo:[0,1] neg_hi:[0,1]
	v_mov_b32_e32 v12, v18
	v_mov_b32_e32 v13, v31
	ds_write2_b64 v33, v[6:7], v[12:13] offset1:24
	v_mov_b32_e32 v12, v30
	v_mov_b32_e32 v13, v19
	ds_write_b64 v33, v[12:13] offset:384
	s_waitcnt lgkmcnt(0)
	s_barrier
	s_and_saveexec_b64 s[2:3], vcc
	s_cbranch_execz .LBB0_27
; %bb.26:
	ds_read_b64 v[26:27], v32
	ds_read2_b64 v[12:15], v25 offset0:72 offset1:144
	ds_read2_b64 v[16:19], v10 offset0:120 offset1:192
	v_add_u32_e32 v0, 0x400, v25
	ds_read2_b64 v[8:11], v0 offset0:88 offset1:160
	ds_read2_b64 v[4:7], v3 offset0:104 offset1:176
	;; [unrolled: 1-line block ×3, first 2 shown]
	s_waitcnt lgkmcnt(2)
	v_mov_b32_e32 v29, v11
	v_mov_b32_e32 v30, v18
	;; [unrolled: 1-line block ×4, first 2 shown]
	s_waitcnt lgkmcnt(1)
	v_mov_b32_e32 v28, v4
	v_mov_b32_e32 v4, v10
	;; [unrolled: 1-line block ×5, first 2 shown]
.LBB0_27:
	s_or_b64 exec, exec, s[2:3]
	v_cmp_gt_u32_e64 s[2:3], s4, v24
	s_and_b64 s[0:1], s[0:1], s[2:3]
	s_and_saveexec_b64 s[2:3], s[0:1]
	s_cbranch_execz .LBB0_29
; %bb.28:
	v_add_u32_e32 v10, 0xffffffb8, v24
	v_cndmask_b32_e32 v10, v10, v24, vcc
	v_mul_i32_i24_e32 v10, 10, v10
	v_mov_b32_e32 v11, 0
	v_lshl_add_u64 v[12:13], v[10:11], 3, s[8:9]
	global_load_dwordx4 v[32:35], v[12:13], off offset:624
	global_load_dwordx4 v[36:39], v[12:13], off offset:608
	global_load_dwordx4 v[40:43], v[12:13], off offset:576
	global_load_dwordx4 v[44:47], v[12:13], off offset:560
	global_load_dwordx4 v[48:51], v[12:13], off offset:592
	s_waitcnt lgkmcnt(0)
	v_mov_b32_e32 v12, v3
	v_mov_b32_e32 v52, v1
	v_mul_lo_u32 v1, s11, v22
	v_mul_lo_u32 v3, s10, v23
	v_mad_u64_u32 v[22:23], s[0:1], s10, v22, 0
	v_add3_u32 v23, v23, v3, v1
	v_mov_b32_e32 v25, v11
	v_lshl_add_u64 v[10:11], v[22:23], 3, s[6:7]
	v_mov_b32_e32 v54, v31
	v_mov_b32_e32 v58, v14
	v_mov_b32_e32 v59, v17
	v_mov_b32_e32 v62, v9
	v_mov_b32_e32 v66, v5
	v_lshl_add_u64 v[10:11], v[20:21], 3, v[10:11]
	v_mov_b32_e32 v56, v19
	v_mov_b32_e32 v14, v17
	;; [unrolled: 1-line block ×3, first 2 shown]
	v_lshl_add_u64 v[10:11], v[24:25], 3, v[10:11]
	v_mov_b32_e32 v64, v29
	v_mov_b32_e32 v68, v7
	s_mov_b32 s20, 0x3f575c64
	s_mov_b32 s21, 0xbf0a6770
	;; [unrolled: 1-line block ×32, first 2 shown]
	s_waitcnt vmcnt(4)
	v_pk_mul_f32 v[12:13], v[12:13], v[34:35] op_sel_hi:[0,1]
	v_pk_mul_f32 v[20:21], v[52:53], v[32:33] op_sel_hi:[0,1]
	s_waitcnt vmcnt(3)
	v_pk_mul_f32 v[22:23], v[54:55], v[36:37] op_sel_hi:[0,1]
	s_waitcnt vmcnt(2)
	v_pk_mul_f32 v[52:53], v[62:63], v[40:41] op_sel_hi:[0,1]
	s_waitcnt vmcnt(1)
	v_pk_mul_f32 v[54:55], v[58:59], v[44:45] op_sel:[0,1] op_sel_hi:[1,0]
	s_waitcnt vmcnt(0)
	v_pk_mul_f32 v[62:63], v[66:67], v[48:49] op_sel_hi:[0,1]
	v_pk_fma_f32 v[66:67], v[2:3], v[34:35], v[12:13] op_sel:[0,0,1] op_sel_hi:[0,1,0] neg_lo:[0,0,1] neg_hi:[0,0,1]
	v_pk_fma_f32 v[12:13], v[2:3], v[34:35], v[12:13] op_sel:[0,0,1] op_sel_hi:[0,1,0]
	v_pk_fma_f32 v[34:35], v[0:1], v[32:33], v[20:21] op_sel:[0,0,1] op_sel_hi:[1,1,0] neg_lo:[0,0,1] neg_hi:[0,0,1]
	v_pk_fma_f32 v[0:1], v[0:1], v[32:33], v[20:21] op_sel:[0,0,1] op_sel_hi:[0,1,0]
	v_pk_mul_f32 v[24:25], v[56:57], v[38:39] op_sel_hi:[0,1]
	v_pk_mul_f32 v[14:15], v[14:15], v[44:45] op_sel:[0,1] op_sel_hi:[0,0]
	v_mov_b32_e32 v0, v55
	v_pk_mul_f32 v[56:57], v[60:61], v[46:47] op_sel_hi:[0,1]
	v_pk_fma_f32 v[20:21], v[18:19], v[36:37], v[22:23] op_sel:[0,0,1] op_sel_hi:[1,1,0] neg_lo:[0,0,1] neg_hi:[0,0,1]
	v_pk_fma_f32 v[2:3], v[18:19], v[36:37], v[22:23] op_sel:[0,0,1] op_sel_hi:[0,1,0]
	v_pk_fma_f32 v[18:19], v[30:31], v[38:39], v[24:25] op_sel:[0,0,1] op_sel_hi:[1,1,0] neg_lo:[0,0,1] neg_hi:[0,0,1]
	v_pk_fma_f32 v[22:23], v[30:31], v[38:39], v[24:25] op_sel:[0,0,1] op_sel_hi:[0,1,0]
	;; [unrolled: 2-line block ×3, first 2 shown]
	v_pk_fma_f32 v[14:15], v[58:59], v[44:45], v[14:15] neg_lo:[0,0,1] neg_hi:[0,0,1]
	v_pk_fma_f32 v[40:41], v[58:59], v[44:45], v[0:1] op_sel:[0,1,0] op_sel_hi:[1,0,1]
	v_pk_mul_f32 v[60:61], v[64:65], v[42:43] op_sel_hi:[0,1]
	v_pk_fma_f32 v[30:31], v[16:17], v[46:47], v[56:57] op_sel:[0,0,1] op_sel_hi:[1,1,0] neg_lo:[0,0,1] neg_hi:[0,0,1]
	v_pk_fma_f32 v[16:17], v[16:17], v[46:47], v[56:57] op_sel:[0,0,1] op_sel_hi:[0,1,0]
	v_pk_add_f32 v[44:45], v[14:15], v[66:67] neg_lo:[0,1] neg_hi:[0,1]
	v_mov_b32_e32 v25, v9
	v_pk_add_f32 v[46:47], v[66:67], v[14:15]
	v_mov_b32_e32 v8, v13
	v_mov_b32_e32 v9, v40
	;; [unrolled: 1-line block ×3, first 2 shown]
	v_pk_fma_f32 v[32:33], v[4:5], v[42:43], v[60:61] op_sel:[0,0,1] op_sel_hi:[1,1,0] neg_lo:[0,0,1] neg_hi:[0,0,1]
	v_pk_fma_f32 v[4:5], v[4:5], v[42:43], v[60:61] op_sel:[0,0,1] op_sel_hi:[0,1,0]
	v_mov_b32_e32 v43, v13
	v_mov_b32_e32 v31, v17
	v_pk_add_f32 v[52:53], v[40:41], v[8:9] neg_lo:[0,1] neg_hi:[0,1]
	v_pk_add_f32 v[8:9], v[12:13], v[8:9]
	v_pk_add_f32 v[12:13], v[26:27], v[14:15]
	v_pk_mul_f32 v[64:65], v[68:69], v[50:51] op_sel_hi:[0,1]
	v_pk_add_f32 v[12:13], v[12:13], v[30:31]
	v_pk_fma_f32 v[36:37], v[28:29], v[48:49], v[62:63] op_sel:[0,0,1] op_sel_hi:[1,1,0] neg_lo:[0,0,1] neg_hi:[0,0,1]
	v_pk_fma_f32 v[28:29], v[28:29], v[48:49], v[62:63] op_sel:[0,0,1] op_sel_hi:[0,1,0]
	v_mov_b32_e32 v33, v5
	v_pk_add_f32 v[12:13], v[12:13], v[24:25]
	v_pk_fma_f32 v[38:39], v[6:7], v[50:51], v[64:65] op_sel:[0,0,1] op_sel_hi:[1,1,0] neg_lo:[0,0,1] neg_hi:[0,0,1]
	v_pk_fma_f32 v[6:7], v[6:7], v[50:51], v[64:65] op_sel:[0,0,1] op_sel_hi:[0,1,0]
	v_mov_b32_e32 v37, v29
	v_pk_add_f32 v[12:13], v[12:13], v[32:33]
	v_mov_b32_e32 v39, v7
	v_pk_add_f32 v[12:13], v[12:13], v[36:37]
	;; [unrolled: 2-line block ×7, first 2 shown]
	global_store_dwordx2 v[10:11], v[12:13], off
	v_pk_mul_f32 v[12:13], v[46:47], s[20:21]
	v_mov_b32_e32 v8, v52
	v_pk_add_f32 v[6:7], v[34:35], v[30:31]
	v_pk_add_f32 v[22:23], v[30:31], v[34:35] neg_lo:[0,1] neg_hi:[0,1]
	v_pk_fma_f32 v[16:17], v[52:53], s[0:1], v[12:13] neg_lo:[1,0,0] neg_hi:[1,0,0]
	v_pk_fma_f32 v[14:15], v[8:9], s[0:1], v[12:13]
	v_mov_b32_e32 v34, v6
	v_mov_b32_e32 v17, v15
	;; [unrolled: 1-line block ×3, first 2 shown]
	v_pk_add_f32 v[2:3], v[20:21], v[32:33]
	v_pk_add_f32 v[48:49], v[32:33], v[20:21] neg_lo:[0,1] neg_hi:[0,1]
	v_pk_add_f32 v[20:21], v[26:27], v[16:17]
	v_pk_mul_f32 v[16:17], v[34:35], s[14:15]
	v_mov_b32_e32 v6, v23
	v_pk_add_f32 v[4:5], v[18:19], v[24:25]
	v_pk_add_f32 v[28:29], v[24:25], v[18:19] neg_lo:[0,1] neg_hi:[0,1]
	v_pk_fma_f32 v[22:23], v[6:7], s[2:3], v[16:17] neg_lo:[1,0,0] neg_hi:[1,0,0]
	v_pk_fma_f32 v[18:19], v[6:7], s[2:3], v[16:17]
	v_pk_add_f32 v[0:1], v[38:39], v[36:37]
	v_pk_add_f32 v[50:51], v[36:37], v[38:39] neg_lo:[0,1] neg_hi:[0,1]
	v_mov_b32_e32 v23, v19
	v_mov_b32_e32 v36, v4
	v_mov_b32_e32 v37, v28
	v_pk_add_f32 v[24:25], v[20:21], v[22:23]
	v_pk_mul_f32 v[20:21], v[36:37], s[18:19]
	v_mov_b32_e32 v4, v29
	v_pk_fma_f32 v[28:29], v[4:5], s[4:5], v[20:21] neg_lo:[1,0,0] neg_hi:[1,0,0]
	v_pk_fma_f32 v[22:23], v[4:5], s[4:5], v[20:21]
	v_mov_b32_e32 v38, v2
	v_mov_b32_e32 v29, v23
	v_mov_b32_e32 v39, v48
	v_pk_add_f32 v[30:31], v[24:25], v[28:29]
	v_pk_mul_f32 v[24:25], v[38:39], s[22:23]
	v_mov_b32_e32 v2, v49
	v_pk_fma_f32 v[32:33], v[2:3], s[6:7], v[24:25] neg_lo:[1,0,0] neg_hi:[1,0,0]
	v_pk_fma_f32 v[28:29], v[2:3], s[6:7], v[24:25]
	;; [unrolled: 8-line block ×3, first 2 shown]
	v_pk_mul_f32 v[50:51], v[34:35], s[22:23]
	v_mov_b32_e32 v45, v33
	v_pk_add_f32 v[40:41], v[40:41], v[44:45]
	global_store_dwordx2 v[10:11], v[40:41], off offset:576
	v_pk_mul_f32 v[40:41], v[46:47], s[14:15]
	v_pk_fma_f32 v[54:55], v[6:7], s[6:7], v[50:51] neg_lo:[1,0,0] neg_hi:[1,0,0]
	v_pk_fma_f32 v[44:45], v[52:53], s[2:3], v[40:41] neg_lo:[1,0,0] neg_hi:[1,0,0]
	v_pk_fma_f32 v[48:49], v[8:9], s[2:3], v[40:41]
	v_pk_fma_f32 v[56:57], v[6:7], s[6:7], v[50:51]
	v_mov_b32_e32 v45, v49
	v_pk_add_f32 v[44:45], v[26:27], v[44:45]
	v_mov_b32_e32 v55, v57
	v_pk_add_f32 v[44:45], v[44:45], v[54:55]
	v_pk_mul_f32 v[54:55], v[36:37], s[24:25]
	v_pk_mul_f32 v[72:73], v[34:35], s[24:25]
	v_pk_fma_f32 v[58:59], v[4:5], s[10:11], v[54:55] neg_lo:[1,0,0] neg_hi:[1,0,0]
	v_pk_fma_f32 v[60:61], v[4:5], s[10:11], v[54:55]
	v_pk_fma_f32 v[74:75], v[6:7], s[10:11], v[72:73] neg_lo:[1,0,0] neg_hi:[1,0,0]
	v_mov_b32_e32 v59, v61
	v_pk_add_f32 v[44:45], v[44:45], v[58:59]
	v_pk_mul_f32 v[58:59], v[38:39], s[28:29]
	v_pk_fma_f32 v[76:77], v[6:7], s[10:11], v[72:73]
	v_pk_fma_f32 v[62:63], v[2:3], s[12:13], v[58:59] neg_lo:[1,0,0] neg_hi:[1,0,0]
	v_pk_fma_f32 v[64:65], v[2:3], s[12:13], v[58:59]
	v_mov_b32_e32 v75, v77
	v_mov_b32_e32 v63, v65
	v_pk_add_f32 v[44:45], v[44:45], v[62:63]
	v_pk_mul_f32 v[62:63], v[42:43], s[30:31]
	s_mov_b32 s15, 0x3f68dda4
	v_pk_fma_f32 v[66:67], v[0:1], s[16:17], v[62:63] neg_lo:[1,0,0] neg_hi:[1,0,0]
	v_pk_fma_f32 v[68:69], v[0:1], s[16:17], v[62:63]
	s_mov_b32 s24, s15
	v_mov_b32_e32 v67, v69
	v_pk_add_f32 v[44:45], v[44:45], v[66:67]
	global_store_dwordx2 v[10:11], v[44:45], off offset:1152
	v_pk_mul_f32 v[44:45], v[46:47], s[18:19]
	s_mov_b32 s25, s14
	v_pk_fma_f32 v[66:67], v[52:53], s[4:5], v[44:45] neg_lo:[1,0,0] neg_hi:[1,0,0]
	v_pk_fma_f32 v[70:71], v[8:9], s[4:5], v[44:45]
	v_pk_mul_f32 v[92:93], v[34:35], s[28:29]
	v_mov_b32_e32 v67, v71
	v_pk_add_f32 v[66:67], v[26:27], v[66:67]
	v_pk_fma_f32 v[94:95], v[6:7], s[12:13], v[92:93] neg_lo:[1,0,0] neg_hi:[1,0,0]
	v_pk_add_f32 v[66:67], v[66:67], v[74:75]
	v_pk_mul_f32 v[74:75], v[36:37], s[14:15]
	v_pk_fma_f32 v[96:97], v[6:7], s[12:13], v[92:93]
	v_pk_fma_f32 v[78:79], v[4:5], s[24:25], v[74:75] neg_lo:[1,0,0] neg_hi:[1,0,0]
	v_pk_fma_f32 v[80:81], v[4:5], s[24:25], v[74:75]
	v_mov_b32_e32 v95, v97
	v_mov_b32_e32 v79, v81
	v_pk_add_f32 v[66:67], v[66:67], v[78:79]
	v_pk_mul_f32 v[78:79], v[38:39], s[20:21]
	v_pk_mul_f32 v[34:35], v[34:35], s[30:31]
	v_pk_fma_f32 v[82:83], v[2:3], s[0:1], v[78:79] neg_lo:[1,0,0] neg_hi:[1,0,0]
	v_pk_fma_f32 v[84:85], v[2:3], s[0:1], v[78:79]
	v_pk_fma_f32 v[110:111], v[6:7], s[16:17], v[34:35]
	v_mov_b32_e32 v83, v85
	v_pk_add_f32 v[66:67], v[66:67], v[82:83]
	v_pk_mul_f32 v[82:83], v[42:43], s[22:23]
	s_nop 0
	v_pk_fma_f32 v[86:87], v[0:1], s[6:7], v[82:83] neg_lo:[1,0,0] neg_hi:[1,0,0]
	v_pk_fma_f32 v[88:89], v[0:1], s[6:7], v[82:83]
	s_nop 0
	v_mov_b32_e32 v87, v89
	v_pk_add_f32 v[66:67], v[66:67], v[86:87]
	global_store_dwordx2 v[10:11], v[66:67], off offset:1728
	v_pk_mul_f32 v[66:67], v[46:47], s[22:23]
	v_pk_mul_f32 v[46:47], v[46:47], s[26:27]
	v_pk_fma_f32 v[86:87], v[52:53], s[6:7], v[66:67] neg_lo:[1,0,0] neg_hi:[1,0,0]
	v_pk_fma_f32 v[90:91], v[8:9], s[6:7], v[66:67]
	v_pk_fma_f32 v[52:53], v[52:53], s[8:9], v[46:47] neg_lo:[1,0,0] neg_hi:[1,0,0]
	v_mov_b32_e32 v87, v91
	v_pk_add_f32 v[86:87], v[26:27], v[86:87]
	s_nop 0
	v_pk_add_f32 v[86:87], v[86:87], v[94:95]
	v_pk_mul_f32 v[94:95], v[36:37], s[20:21]
	v_pk_mul_f32 v[36:37], v[36:37], s[22:23]
	v_pk_fma_f32 v[98:99], v[4:5], s[0:1], v[94:95] neg_lo:[1,0,0] neg_hi:[1,0,0]
	v_pk_fma_f32 v[100:101], v[4:5], s[0:1], v[94:95]
	v_pk_fma_f32 v[112:113], v[4:5], s[6:7], v[36:37]
	v_mov_b32_e32 v99, v101
	v_pk_add_f32 v[86:87], v[86:87], v[98:99]
	v_pk_mul_f32 v[98:99], v[38:39], s[26:27]
	v_pk_mul_f32 v[38:39], v[38:39], s[14:15]
	v_pk_fma_f32 v[102:103], v[2:3], s[8:9], v[98:99] neg_lo:[1,0,0] neg_hi:[1,0,0]
	v_pk_fma_f32 v[104:105], v[2:3], s[8:9], v[98:99]
	v_pk_fma_f32 v[114:115], v[2:3], s[24:25], v[38:39]
	v_mov_b32_e32 v103, v105
	;; [unrolled: 7-line block ×3, first 2 shown]
	v_pk_add_f32 v[86:87], v[86:87], v[106:107]
	global_store_dwordx2 v[10:11], v[86:87], off offset:2304
	v_pk_fma_f32 v[86:87], v[8:9], s[8:9], v[46:47]
	v_pk_fma_f32 v[106:107], v[6:7], s[16:17], v[34:35] neg_lo:[1,0,0] neg_hi:[1,0,0]
	v_mov_b32_e32 v53, v87
	v_pk_add_f32 v[52:53], v[26:27], v[52:53]
	v_mov_b32_e32 v107, v111
	v_pk_add_f32 v[52:53], v[52:53], v[106:107]
	v_pk_fma_f32 v[106:107], v[4:5], s[6:7], v[36:37] neg_lo:[1,0,0] neg_hi:[1,0,0]
	v_pk_fma_f32 v[46:47], v[8:9], s[8:9], v[46:47] neg_lo:[0,0,1] neg_hi:[0,0,1]
	v_mov_b32_e32 v107, v113
	v_mov_b32_e32 v87, v47
	v_pk_fma_f32 v[34:35], v[6:7], s[16:17], v[34:35] neg_lo:[0,0,1] neg_hi:[0,0,1]
	v_pk_add_f32 v[52:53], v[52:53], v[106:107]
	v_pk_fma_f32 v[106:107], v[2:3], s[24:25], v[38:39] neg_lo:[1,0,0] neg_hi:[1,0,0]
	v_mov_b32_e32 v111, v35
	v_pk_add_f32 v[34:35], v[26:27], v[86:87]
	v_pk_fma_f32 v[36:37], v[4:5], s[6:7], v[36:37] neg_lo:[0,0,1] neg_hi:[0,0,1]
	v_mov_b32_e32 v107, v115
	v_pk_add_f32 v[34:35], v[34:35], v[110:111]
	v_mov_b32_e32 v113, v37
	v_pk_fma_f32 v[36:37], v[2:3], s[24:25], v[38:39] neg_lo:[0,0,1] neg_hi:[0,0,1]
	v_pk_add_f32 v[52:53], v[52:53], v[106:107]
	v_pk_fma_f32 v[106:107], v[0:1], s[4:5], v[42:43] neg_lo:[1,0,0] neg_hi:[1,0,0]
	v_pk_add_f32 v[34:35], v[34:35], v[112:113]
	v_mov_b32_e32 v115, v37
	v_pk_fma_f32 v[36:37], v[0:1], s[4:5], v[42:43] neg_lo:[0,0,1] neg_hi:[0,0,1]
	v_mov_b32_e32 v107, v117
	v_pk_add_f32 v[34:35], v[34:35], v[114:115]
	v_mov_b32_e32 v117, v37
	v_pk_add_f32 v[34:35], v[34:35], v[116:117]
	global_store_dwordx2 v[10:11], v[34:35], off offset:3456
	v_pk_fma_f32 v[34:35], v[8:9], s[6:7], v[66:67] neg_lo:[0,0,1] neg_hi:[0,0,1]
	v_pk_fma_f32 v[36:37], v[4:5], s[0:1], v[94:95] neg_lo:[0,0,1] neg_hi:[0,0,1]
	v_mov_b32_e32 v91, v35
	v_pk_fma_f32 v[34:35], v[6:7], s[12:13], v[92:93] neg_lo:[0,0,1] neg_hi:[0,0,1]
	v_mov_b32_e32 v101, v37
	v_mov_b32_e32 v97, v35
	v_pk_add_f32 v[34:35], v[26:27], v[90:91]
	v_pk_fma_f32 v[36:37], v[2:3], s[8:9], v[98:99] neg_lo:[0,0,1] neg_hi:[0,0,1]
	v_pk_add_f32 v[34:35], v[34:35], v[96:97]
	v_mov_b32_e32 v105, v37
	v_pk_add_f32 v[34:35], v[34:35], v[100:101]
	v_pk_fma_f32 v[36:37], v[0:1], s[24:25], v[102:103] neg_lo:[0,0,1] neg_hi:[0,0,1]
	v_pk_add_f32 v[34:35], v[34:35], v[104:105]
	v_mov_b32_e32 v109, v37
	v_pk_add_f32 v[34:35], v[34:35], v[108:109]
	global_store_dwordx2 v[10:11], v[34:35], off offset:4032
	v_pk_fma_f32 v[34:35], v[8:9], s[4:5], v[44:45] neg_lo:[0,0,1] neg_hi:[0,0,1]
	v_pk_fma_f32 v[36:37], v[4:5], s[24:25], v[74:75] neg_lo:[0,0,1] neg_hi:[0,0,1]
	v_mov_b32_e32 v71, v35
	v_pk_fma_f32 v[34:35], v[6:7], s[10:11], v[72:73] neg_lo:[0,0,1] neg_hi:[0,0,1]
	v_mov_b32_e32 v81, v37
	v_mov_b32_e32 v77, v35
	v_pk_add_f32 v[34:35], v[26:27], v[70:71]
	v_pk_fma_f32 v[36:37], v[2:3], s[0:1], v[78:79] neg_lo:[0,0,1] neg_hi:[0,0,1]
	v_pk_add_f32 v[34:35], v[34:35], v[76:77]
	v_pk_add_f32 v[52:53], v[52:53], v[106:107]
	;; [unrolled: 1-line block ×3, first 2 shown]
	v_mov_b32_e32 v85, v37
	v_pk_fma_f32 v[36:37], v[0:1], s[6:7], v[82:83] neg_lo:[0,0,1] neg_hi:[0,0,1]
	s_movk_i32 s14, 0x1000
	global_store_dwordx2 v[10:11], v[52:53], off offset:2880
	v_pk_add_f32 v[34:35], v[34:35], v[84:85]
	v_mov_b32_e32 v89, v37
	v_add_co_u32_e32 v10, vcc, s14, v10
	v_pk_add_f32 v[34:35], v[34:35], v[88:89]
	s_nop 0
	v_addc_co_u32_e32 v11, vcc, 0, v11, vcc
	global_store_dwordx2 v[10:11], v[34:35], off offset:512
	v_pk_fma_f32 v[34:35], v[8:9], s[2:3], v[40:41] neg_lo:[0,0,1] neg_hi:[0,0,1]
	v_pk_fma_f32 v[8:9], v[8:9], s[0:1], v[12:13] neg_lo:[0,0,1] neg_hi:[0,0,1]
	v_mov_b32_e32 v49, v35
	v_pk_fma_f32 v[36:37], v[6:7], s[6:7], v[50:51] neg_lo:[0,0,1] neg_hi:[0,0,1]
	v_mov_b32_e32 v15, v9
	v_pk_fma_f32 v[6:7], v[6:7], s[2:3], v[16:17] neg_lo:[0,0,1] neg_hi:[0,0,1]
	v_pk_add_f32 v[34:35], v[26:27], v[48:49]
	v_mov_b32_e32 v57, v37
	v_pk_fma_f32 v[36:37], v[4:5], s[10:11], v[54:55] neg_lo:[0,0,1] neg_hi:[0,0,1]
	v_pk_add_f32 v[8:9], v[26:27], v[14:15]
	;; [unrolled: 3-line block ×7, first 2 shown]
	v_mov_b32_e32 v69, v37
	v_pk_add_f32 v[2:3], v[4:5], v[28:29]
	v_mov_b32_e32 v33, v1
	v_pk_add_f32 v[34:35], v[34:35], v[68:69]
	v_pk_add_f32 v[0:1], v[2:3], v[32:33]
	global_store_dwordx2 v[10:11], v[34:35], off offset:1088
	global_store_dwordx2 v[10:11], v[0:1], off offset:1664
.LBB0_29:
	s_endpgm
	.section	.rodata,"a",@progbits
	.p2align	6, 0x0
	.amdhsa_kernel fft_rtc_fwd_len792_factors_2_2_2_3_3_11_wgs_176_tpt_88_sp_op_CI_CI_unitstride_sbrr_dirReg
		.amdhsa_group_segment_fixed_size 0
		.amdhsa_private_segment_fixed_size 0
		.amdhsa_kernarg_size 104
		.amdhsa_user_sgpr_count 2
		.amdhsa_user_sgpr_dispatch_ptr 0
		.amdhsa_user_sgpr_queue_ptr 0
		.amdhsa_user_sgpr_kernarg_segment_ptr 1
		.amdhsa_user_sgpr_dispatch_id 0
		.amdhsa_user_sgpr_kernarg_preload_length 0
		.amdhsa_user_sgpr_kernarg_preload_offset 0
		.amdhsa_user_sgpr_private_segment_size 0
		.amdhsa_uses_dynamic_stack 0
		.amdhsa_enable_private_segment 0
		.amdhsa_system_sgpr_workgroup_id_x 1
		.amdhsa_system_sgpr_workgroup_id_y 0
		.amdhsa_system_sgpr_workgroup_id_z 0
		.amdhsa_system_sgpr_workgroup_info 0
		.amdhsa_system_vgpr_workitem_id 0
		.amdhsa_next_free_vgpr 118
		.amdhsa_next_free_sgpr 32
		.amdhsa_accum_offset 120
		.amdhsa_reserve_vcc 1
		.amdhsa_float_round_mode_32 0
		.amdhsa_float_round_mode_16_64 0
		.amdhsa_float_denorm_mode_32 3
		.amdhsa_float_denorm_mode_16_64 3
		.amdhsa_dx10_clamp 1
		.amdhsa_ieee_mode 1
		.amdhsa_fp16_overflow 0
		.amdhsa_tg_split 0
		.amdhsa_exception_fp_ieee_invalid_op 0
		.amdhsa_exception_fp_denorm_src 0
		.amdhsa_exception_fp_ieee_div_zero 0
		.amdhsa_exception_fp_ieee_overflow 0
		.amdhsa_exception_fp_ieee_underflow 0
		.amdhsa_exception_fp_ieee_inexact 0
		.amdhsa_exception_int_div_zero 0
	.end_amdhsa_kernel
	.text
.Lfunc_end0:
	.size	fft_rtc_fwd_len792_factors_2_2_2_3_3_11_wgs_176_tpt_88_sp_op_CI_CI_unitstride_sbrr_dirReg, .Lfunc_end0-fft_rtc_fwd_len792_factors_2_2_2_3_3_11_wgs_176_tpt_88_sp_op_CI_CI_unitstride_sbrr_dirReg
                                        ; -- End function
	.section	.AMDGPU.csdata,"",@progbits
; Kernel info:
; codeLenInByte = 6792
; NumSgprs: 38
; NumVgprs: 118
; NumAgprs: 0
; TotalNumVgprs: 118
; ScratchSize: 0
; MemoryBound: 0
; FloatMode: 240
; IeeeMode: 1
; LDSByteSize: 0 bytes/workgroup (compile time only)
; SGPRBlocks: 4
; VGPRBlocks: 14
; NumSGPRsForWavesPerEU: 38
; NumVGPRsForWavesPerEU: 118
; AccumOffset: 120
; Occupancy: 4
; WaveLimiterHint : 1
; COMPUTE_PGM_RSRC2:SCRATCH_EN: 0
; COMPUTE_PGM_RSRC2:USER_SGPR: 2
; COMPUTE_PGM_RSRC2:TRAP_HANDLER: 0
; COMPUTE_PGM_RSRC2:TGID_X_EN: 1
; COMPUTE_PGM_RSRC2:TGID_Y_EN: 0
; COMPUTE_PGM_RSRC2:TGID_Z_EN: 0
; COMPUTE_PGM_RSRC2:TIDIG_COMP_CNT: 0
; COMPUTE_PGM_RSRC3_GFX90A:ACCUM_OFFSET: 29
; COMPUTE_PGM_RSRC3_GFX90A:TG_SPLIT: 0
	.text
	.p2alignl 6, 3212836864
	.fill 256, 4, 3212836864
	.type	__hip_cuid_6b0117fb00a8d30e,@object ; @__hip_cuid_6b0117fb00a8d30e
	.section	.bss,"aw",@nobits
	.globl	__hip_cuid_6b0117fb00a8d30e
__hip_cuid_6b0117fb00a8d30e:
	.byte	0                               ; 0x0
	.size	__hip_cuid_6b0117fb00a8d30e, 1

	.ident	"AMD clang version 19.0.0git (https://github.com/RadeonOpenCompute/llvm-project roc-6.4.0 25133 c7fe45cf4b819c5991fe208aaa96edf142730f1d)"
	.section	".note.GNU-stack","",@progbits
	.addrsig
	.addrsig_sym __hip_cuid_6b0117fb00a8d30e
	.amdgpu_metadata
---
amdhsa.kernels:
  - .agpr_count:     0
    .args:
      - .actual_access:  read_only
        .address_space:  global
        .offset:         0
        .size:           8
        .value_kind:     global_buffer
      - .offset:         8
        .size:           8
        .value_kind:     by_value
      - .actual_access:  read_only
        .address_space:  global
        .offset:         16
        .size:           8
        .value_kind:     global_buffer
      - .actual_access:  read_only
        .address_space:  global
        .offset:         24
        .size:           8
        .value_kind:     global_buffer
      - .actual_access:  read_only
        .address_space:  global
        .offset:         32
        .size:           8
        .value_kind:     global_buffer
      - .offset:         40
        .size:           8
        .value_kind:     by_value
      - .actual_access:  read_only
        .address_space:  global
        .offset:         48
        .size:           8
        .value_kind:     global_buffer
      - .actual_access:  read_only
        .address_space:  global
        .offset:         56
        .size:           8
        .value_kind:     global_buffer
      - .offset:         64
        .size:           4
        .value_kind:     by_value
      - .actual_access:  read_only
        .address_space:  global
        .offset:         72
        .size:           8
        .value_kind:     global_buffer
      - .actual_access:  read_only
        .address_space:  global
        .offset:         80
        .size:           8
        .value_kind:     global_buffer
      - .actual_access:  read_only
        .address_space:  global
        .offset:         88
        .size:           8
        .value_kind:     global_buffer
      - .actual_access:  write_only
        .address_space:  global
        .offset:         96
        .size:           8
        .value_kind:     global_buffer
    .group_segment_fixed_size: 0
    .kernarg_segment_align: 8
    .kernarg_segment_size: 104
    .language:       OpenCL C
    .language_version:
      - 2
      - 0
    .max_flat_workgroup_size: 176
    .name:           fft_rtc_fwd_len792_factors_2_2_2_3_3_11_wgs_176_tpt_88_sp_op_CI_CI_unitstride_sbrr_dirReg
    .private_segment_fixed_size: 0
    .sgpr_count:     38
    .sgpr_spill_count: 0
    .symbol:         fft_rtc_fwd_len792_factors_2_2_2_3_3_11_wgs_176_tpt_88_sp_op_CI_CI_unitstride_sbrr_dirReg.kd
    .uniform_work_group_size: 1
    .uses_dynamic_stack: false
    .vgpr_count:     118
    .vgpr_spill_count: 0
    .wavefront_size: 64
amdhsa.target:   amdgcn-amd-amdhsa--gfx950
amdhsa.version:
  - 1
  - 2
...

	.end_amdgpu_metadata
